;; amdgpu-corpus repo=ROCm/rocFFT kind=compiled arch=gfx1030 opt=O3
	.text
	.amdgcn_target "amdgcn-amd-amdhsa--gfx1030"
	.amdhsa_code_object_version 6
	.protected	fft_rtc_fwd_len858_factors_13_11_6_wgs_234_tpt_78_halfLds_half_ip_CI_unitstride_sbrr_R2C_dirReg ; -- Begin function fft_rtc_fwd_len858_factors_13_11_6_wgs_234_tpt_78_halfLds_half_ip_CI_unitstride_sbrr_R2C_dirReg
	.globl	fft_rtc_fwd_len858_factors_13_11_6_wgs_234_tpt_78_halfLds_half_ip_CI_unitstride_sbrr_R2C_dirReg
	.p2align	8
	.type	fft_rtc_fwd_len858_factors_13_11_6_wgs_234_tpt_78_halfLds_half_ip_CI_unitstride_sbrr_R2C_dirReg,@function
fft_rtc_fwd_len858_factors_13_11_6_wgs_234_tpt_78_halfLds_half_ip_CI_unitstride_sbrr_R2C_dirReg: ; @fft_rtc_fwd_len858_factors_13_11_6_wgs_234_tpt_78_halfLds_half_ip_CI_unitstride_sbrr_R2C_dirReg
; %bb.0:
	s_load_dwordx4 s[8:11], s[4:5], 0x0
	v_mul_u32_u24_e32 v1, 0x349, v0
	s_clause 0x1
	s_load_dwordx2 s[2:3], s[4:5], 0x50
	s_load_dwordx2 s[12:13], s[4:5], 0x18
	v_mov_b32_e32 v5, 0
	v_mov_b32_e32 v3, 0
	;; [unrolled: 1-line block ×3, first 2 shown]
	v_lshrrev_b32_e32 v1, 16, v1
	v_mad_u64_u32 v[1:2], null, s6, 3, v[1:2]
	v_mov_b32_e32 v2, v5
	v_mov_b32_e32 v10, v2
	;; [unrolled: 1-line block ×3, first 2 shown]
	s_waitcnt lgkmcnt(0)
	v_cmp_lt_u64_e64 s0, s[10:11], 2
	s_and_b32 vcc_lo, exec_lo, s0
	s_cbranch_vccnz .LBB0_8
; %bb.1:
	s_load_dwordx2 s[0:1], s[4:5], 0x10
	v_mov_b32_e32 v3, 0
	v_mov_b32_e32 v8, v2
	s_add_u32 s6, s12, 8
	v_mov_b32_e32 v4, 0
	v_mov_b32_e32 v7, v1
	s_addc_u32 s7, s13, 0
	s_mov_b64 s[16:17], 1
	s_waitcnt lgkmcnt(0)
	s_add_u32 s14, s0, 8
	s_addc_u32 s15, s1, 0
.LBB0_2:                                ; =>This Inner Loop Header: Depth=1
	s_load_dwordx2 s[18:19], s[14:15], 0x0
                                        ; implicit-def: $vgpr9_vgpr10
	s_mov_b32 s0, exec_lo
	s_waitcnt lgkmcnt(0)
	v_or_b32_e32 v6, s19, v8
	v_cmpx_ne_u64_e32 0, v[5:6]
	s_xor_b32 s1, exec_lo, s0
	s_cbranch_execz .LBB0_4
; %bb.3:                                ;   in Loop: Header=BB0_2 Depth=1
	v_cvt_f32_u32_e32 v2, s18
	v_cvt_f32_u32_e32 v6, s19
	s_sub_u32 s0, 0, s18
	s_subb_u32 s20, 0, s19
	v_fmac_f32_e32 v2, 0x4f800000, v6
	v_rcp_f32_e32 v2, v2
	v_mul_f32_e32 v2, 0x5f7ffffc, v2
	v_mul_f32_e32 v6, 0x2f800000, v2
	v_trunc_f32_e32 v6, v6
	v_fmac_f32_e32 v2, 0xcf800000, v6
	v_cvt_u32_f32_e32 v6, v6
	v_cvt_u32_f32_e32 v2, v2
	v_mul_lo_u32 v9, s0, v6
	v_mul_hi_u32 v10, s0, v2
	v_mul_lo_u32 v11, s20, v2
	v_add_nc_u32_e32 v9, v10, v9
	v_mul_lo_u32 v10, s0, v2
	v_add_nc_u32_e32 v9, v9, v11
	v_mul_hi_u32 v11, v2, v10
	v_mul_lo_u32 v12, v2, v9
	v_mul_hi_u32 v13, v2, v9
	v_mul_hi_u32 v14, v6, v10
	v_mul_lo_u32 v10, v6, v10
	v_mul_hi_u32 v15, v6, v9
	v_mul_lo_u32 v9, v6, v9
	v_add_co_u32 v11, vcc_lo, v11, v12
	v_add_co_ci_u32_e32 v12, vcc_lo, 0, v13, vcc_lo
	v_add_co_u32 v10, vcc_lo, v11, v10
	v_add_co_ci_u32_e32 v10, vcc_lo, v12, v14, vcc_lo
	v_add_co_ci_u32_e32 v11, vcc_lo, 0, v15, vcc_lo
	v_add_co_u32 v9, vcc_lo, v10, v9
	v_add_co_ci_u32_e32 v10, vcc_lo, 0, v11, vcc_lo
	v_add_co_u32 v2, vcc_lo, v2, v9
	v_add_co_ci_u32_e32 v6, vcc_lo, v6, v10, vcc_lo
	v_mul_hi_u32 v9, s0, v2
	v_mul_lo_u32 v11, s20, v2
	v_mul_lo_u32 v10, s0, v6
	v_add_nc_u32_e32 v9, v9, v10
	v_mul_lo_u32 v10, s0, v2
	v_add_nc_u32_e32 v9, v9, v11
	v_mul_hi_u32 v11, v2, v10
	v_mul_lo_u32 v12, v2, v9
	v_mul_hi_u32 v13, v2, v9
	v_mul_hi_u32 v14, v6, v10
	v_mul_lo_u32 v10, v6, v10
	v_mul_hi_u32 v15, v6, v9
	v_mul_lo_u32 v9, v6, v9
	v_add_co_u32 v11, vcc_lo, v11, v12
	v_add_co_ci_u32_e32 v12, vcc_lo, 0, v13, vcc_lo
	v_add_co_u32 v10, vcc_lo, v11, v10
	v_add_co_ci_u32_e32 v10, vcc_lo, v12, v14, vcc_lo
	v_add_co_ci_u32_e32 v11, vcc_lo, 0, v15, vcc_lo
	v_add_co_u32 v9, vcc_lo, v10, v9
	v_add_co_ci_u32_e32 v10, vcc_lo, 0, v11, vcc_lo
	v_add_co_u32 v2, vcc_lo, v2, v9
	v_add_co_ci_u32_e32 v6, vcc_lo, v6, v10, vcc_lo
	v_mul_hi_u32 v15, v7, v2
	v_mad_u64_u32 v[11:12], null, v8, v2, 0
	v_mad_u64_u32 v[9:10], null, v7, v6, 0
	v_mad_u64_u32 v[13:14], null, v8, v6, 0
	v_add_co_u32 v2, vcc_lo, v15, v9
	v_add_co_ci_u32_e32 v6, vcc_lo, 0, v10, vcc_lo
	v_add_co_u32 v2, vcc_lo, v2, v11
	v_add_co_ci_u32_e32 v2, vcc_lo, v6, v12, vcc_lo
	v_add_co_ci_u32_e32 v6, vcc_lo, 0, v14, vcc_lo
	v_add_co_u32 v2, vcc_lo, v2, v13
	v_add_co_ci_u32_e32 v6, vcc_lo, 0, v6, vcc_lo
	v_mul_lo_u32 v11, s19, v2
	v_mad_u64_u32 v[9:10], null, s18, v2, 0
	v_mul_lo_u32 v12, s18, v6
	v_sub_co_u32 v9, vcc_lo, v7, v9
	v_add3_u32 v10, v10, v12, v11
	v_sub_nc_u32_e32 v11, v8, v10
	v_subrev_co_ci_u32_e64 v11, s0, s19, v11, vcc_lo
	v_add_co_u32 v12, s0, v2, 2
	v_add_co_ci_u32_e64 v13, s0, 0, v6, s0
	v_sub_co_u32 v14, s0, v9, s18
	v_sub_co_ci_u32_e32 v10, vcc_lo, v8, v10, vcc_lo
	v_subrev_co_ci_u32_e64 v11, s0, 0, v11, s0
	v_cmp_le_u32_e32 vcc_lo, s18, v14
	v_cmp_eq_u32_e64 s0, s19, v10
	v_cndmask_b32_e64 v14, 0, -1, vcc_lo
	v_cmp_le_u32_e32 vcc_lo, s19, v11
	v_cndmask_b32_e64 v15, 0, -1, vcc_lo
	v_cmp_le_u32_e32 vcc_lo, s18, v9
	;; [unrolled: 2-line block ×3, first 2 shown]
	v_cndmask_b32_e64 v16, 0, -1, vcc_lo
	v_cmp_eq_u32_e32 vcc_lo, s19, v11
	v_cndmask_b32_e64 v9, v16, v9, s0
	v_cndmask_b32_e32 v11, v15, v14, vcc_lo
	v_add_co_u32 v14, vcc_lo, v2, 1
	v_add_co_ci_u32_e32 v15, vcc_lo, 0, v6, vcc_lo
	v_cmp_ne_u32_e32 vcc_lo, 0, v11
	v_cndmask_b32_e32 v10, v15, v13, vcc_lo
	v_cndmask_b32_e32 v11, v14, v12, vcc_lo
	v_cmp_ne_u32_e32 vcc_lo, 0, v9
	v_cndmask_b32_e32 v10, v6, v10, vcc_lo
	v_cndmask_b32_e32 v9, v2, v11, vcc_lo
.LBB0_4:                                ;   in Loop: Header=BB0_2 Depth=1
	s_andn2_saveexec_b32 s0, s1
	s_cbranch_execz .LBB0_6
; %bb.5:                                ;   in Loop: Header=BB0_2 Depth=1
	v_cvt_f32_u32_e32 v2, s18
	s_sub_i32 s1, 0, s18
	v_rcp_iflag_f32_e32 v2, v2
	v_mul_f32_e32 v2, 0x4f7ffffe, v2
	v_cvt_u32_f32_e32 v2, v2
	v_mul_lo_u32 v6, s1, v2
	v_mul_hi_u32 v6, v2, v6
	v_add_nc_u32_e32 v2, v2, v6
	v_mul_hi_u32 v2, v7, v2
	v_mul_lo_u32 v6, v2, s18
	v_add_nc_u32_e32 v9, 1, v2
	v_sub_nc_u32_e32 v6, v7, v6
	v_subrev_nc_u32_e32 v10, s18, v6
	v_cmp_le_u32_e32 vcc_lo, s18, v6
	v_cndmask_b32_e32 v6, v6, v10, vcc_lo
	v_cndmask_b32_e32 v2, v2, v9, vcc_lo
	v_mov_b32_e32 v10, v5
	v_cmp_le_u32_e32 vcc_lo, s18, v6
	v_add_nc_u32_e32 v9, 1, v2
	v_cndmask_b32_e32 v9, v2, v9, vcc_lo
.LBB0_6:                                ;   in Loop: Header=BB0_2 Depth=1
	s_or_b32 exec_lo, exec_lo, s0
	s_load_dwordx2 s[0:1], s[6:7], 0x0
	v_mul_lo_u32 v2, v10, s18
	v_mul_lo_u32 v6, v9, s19
	v_mad_u64_u32 v[11:12], null, v9, s18, 0
	s_add_u32 s16, s16, 1
	s_addc_u32 s17, s17, 0
	s_add_u32 s6, s6, 8
	s_addc_u32 s7, s7, 0
	;; [unrolled: 2-line block ×3, first 2 shown]
	v_add3_u32 v2, v12, v6, v2
	v_sub_co_u32 v6, vcc_lo, v7, v11
	v_sub_co_ci_u32_e32 v2, vcc_lo, v8, v2, vcc_lo
	s_waitcnt lgkmcnt(0)
	v_mul_lo_u32 v7, s1, v6
	v_mul_lo_u32 v2, s0, v2
	v_mad_u64_u32 v[3:4], null, s0, v6, v[3:4]
	v_cmp_ge_u64_e64 s0, s[16:17], s[10:11]
	s_and_b32 vcc_lo, exec_lo, s0
	v_add3_u32 v4, v7, v4, v2
	s_cbranch_vccnz .LBB0_8
; %bb.7:                                ;   in Loop: Header=BB0_2 Depth=1
	v_mov_b32_e32 v7, v9
	v_mov_b32_e32 v8, v10
	s_branch .LBB0_2
.LBB0_8:
	s_lshl_b64 s[0:1], s[10:11], 3
	v_mul_hi_u32 v2, 0xaaaaaaab, v1
	s_add_u32 s0, s12, s0
	s_addc_u32 s1, s13, s1
	s_load_dwordx2 s[4:5], s[4:5], 0x20
	s_load_dwordx2 s[0:1], s[0:1], 0x0
	v_mul_hi_u32 v5, 0x3483484, v0
	v_lshrrev_b32_e32 v2, 1, v2
	v_lshl_add_u32 v6, v2, 1, v2
	v_sub_nc_u32_e32 v1, v1, v6
	s_waitcnt lgkmcnt(0)
	v_cmp_gt_u64_e32 vcc_lo, s[4:5], v[9:10]
	v_mul_lo_u32 v7, s0, v10
	v_mul_lo_u32 v8, s1, v9
	v_mad_u64_u32 v[2:3], null, s0, v9, v[3:4]
	v_mul_u32_u24_e32 v4, 0x4e, v5
	v_mul_u32_u24_e32 v1, 0x35b, v1
	v_lshlrev_b32_e32 v12, 2, v1
	v_add3_u32 v3, v8, v3, v7
	v_sub_nc_u32_e32 v8, v0, v4
	v_lshlrev_b64 v[10:11], 2, v[2:3]
	v_lshlrev_b32_e32 v27, 2, v8
	s_and_saveexec_b32 s1, vcc_lo
	s_cbranch_execz .LBB0_10
; %bb.9:
	v_mov_b32_e32 v9, 0
	v_add_co_u32 v2, s0, s2, v10
	v_add_co_ci_u32_e64 v3, s0, s3, v11, s0
	v_lshlrev_b64 v[0:1], 2, v[8:9]
	v_add_co_u32 v0, s0, v2, v0
	v_add_co_ci_u32_e64 v1, s0, v3, v1, s0
	v_add_co_u32 v2, s0, 0x800, v0
	v_add_co_ci_u32_e64 v3, s0, 0, v1, s0
	s_clause 0xa
	global_load_dword v4, v[0:1], off
	global_load_dword v5, v[0:1], off offset:312
	global_load_dword v6, v[0:1], off offset:624
	;; [unrolled: 1-line block ×10, first 2 shown]
	v_add3_u32 v3, 0, v12, v27
	v_add_nc_u32_e32 v16, 0x400, v3
	v_add_nc_u32_e32 v17, 0x600, v3
	;; [unrolled: 1-line block ×3, first 2 shown]
	s_waitcnt vmcnt(9)
	ds_write2_b32 v3, v4, v5 offset1:78
	s_waitcnt vmcnt(7)
	ds_write2_b32 v3, v6, v7 offset0:156 offset1:234
	s_waitcnt vmcnt(5)
	ds_write2_b32 v16, v9, v13 offset0:56 offset1:134
	;; [unrolled: 2-line block ×4, first 2 shown]
	s_waitcnt vmcnt(0)
	ds_write_b32 v3, v2 offset:3120
.LBB0_10:
	s_or_b32 exec_lo, exec_lo, s1
	v_add_nc_u32_e32 v20, 0, v27
	s_waitcnt lgkmcnt(0)
	s_barrier
	buffer_gl0_inv
	v_add_nc_u32_e32 v9, 0, v12
	v_add_nc_u32_e32 v28, v20, v12
	v_mov_b32_e32 v50, 0xba95
	v_mov_b32_e32 v49, 0xbb7b
	;; [unrolled: 1-line block ×3, first 2 shown]
	v_add_nc_u32_e32 v26, v9, v27
	v_add_nc_u32_e32 v22, 0xa00, v28
	;; [unrolled: 1-line block ×5, first 2 shown]
	ds_read2_b32 v[16:17], v28 offset0:66 offset1:132
	ds_read2_b32 v[0:1], v22 offset0:86 offset1:152
	v_add_nc_u32_e32 v31, 0x600, v28
	ds_read2_b32 v[14:15], v30 offset0:70 offset1:136
	ds_read2_b32 v[2:3], v18 offset0:82 offset1:148
	;; [unrolled: 1-line block ×4, first 2 shown]
	ds_read_b32 v25, v26
	v_mov_b32_e32 v48, 0xb3a8
	v_mov_b32_e32 v64, 0x3bf1
	;; [unrolled: 1-line block ×3, first 2 shown]
	s_mov_b32 s1, exec_lo
	s_waitcnt lgkmcnt(0)
	s_barrier
	buffer_gl0_inv
	v_pk_add_f16 v39, v1, v16
	v_pk_add_f16 v34, v16, v1 neg_lo:[0,1] neg_hi:[0,1]
	v_pk_add_f16 v38, v0, v17
	v_pk_add_f16 v32, v17, v0 neg_lo:[0,1] neg_hi:[0,1]
	v_pk_add_f16 v23, v15, v2 neg_lo:[0,1] neg_hi:[0,1]
	v_lshrrev_b32_e32 v47, 16, v39
	v_mul_f16_sdwa v56, v34, v50 dst_sel:DWORD dst_unused:UNUSED_PAD src0_sel:WORD_1 src1_sel:DWORD
	v_mul_f16_e32 v62, 0xba95, v34
	v_pk_add_f16 v37, v3, v14
	v_pk_add_f16 v24, v14, v3 neg_lo:[0,1] neg_hi:[0,1]
	v_mul_f16_sdwa v55, v32, v49 dst_sel:DWORD dst_unused:UNUSED_PAD src0_sel:WORD_1 src1_sel:DWORD
	v_lshrrev_b32_e32 v45, 16, v38
	v_mul_f16_e32 v61, 0xbb7b, v32
	v_mul_f16_sdwa v53, v23, v13 dst_sel:DWORD dst_unused:UNUSED_PAD src0_sel:WORD_1 src1_sel:DWORD
	v_fmamk_f16 v13, v39, 0x388b, v56
	v_fma_f16 v29, v47, 0x388b, -v62
	v_pk_add_f16 v35, v2, v15
	v_mul_f16_sdwa v54, v24, v48 dst_sel:DWORD dst_unused:UNUSED_PAD src0_sel:WORD_1 src1_sel:DWORD
	v_lshrrev_b32_e32 v43, 16, v37
	v_mul_f16_e32 v60, 0xb3a8, v24
	v_fmamk_f16 v40, v38, 0xb5ac, v55
	v_add_f16_e32 v13, v25, v13
	v_fma_f16 v41, v45, 0xb5ac, -v61
	v_add_f16_sdwa v29, v25, v29 dst_sel:DWORD dst_unused:UNUSED_PAD src0_sel:WORD_1 src1_sel:DWORD
	v_pk_add_f16 v33, v5, v6
	v_pk_add_f16 v21, v6, v5 neg_lo:[0,1] neg_hi:[0,1]
	v_lshrrev_b32_e32 v42, 16, v35
	v_mul_f16_e32 v58, 0x394e, v23
	v_fmamk_f16 v46, v37, 0xbbc4, v54
	v_add_f16_e32 v13, v40, v13
	v_fma_f16 v40, v43, 0xbbc4, -v60
	v_add_f16_e32 v29, v41, v29
	v_pk_add_f16 v36, v4, v7
	v_mul_f16_sdwa v51, v21, v64 dst_sel:DWORD dst_unused:UNUSED_PAD src0_sel:WORD_1 src1_sel:DWORD
	v_lshrrev_b32_e32 v44, 16, v33
	v_fmamk_f16 v41, v35, 0xb9fd, v53
	v_add_f16_e32 v13, v46, v13
	v_mul_f16_e32 v57, 0x3bf1, v21
	v_fma_f16 v46, v42, 0xb9fd, -v58
	v_add_f16_e32 v29, v40, v29
	v_pk_add_f16 v40, v7, v4 neg_lo:[0,1] neg_hi:[0,1]
	v_fmamk_f16 v65, v33, 0x2fb7, v51
	v_add_f16_e32 v13, v41, v13
	v_fma_f16 v41, v44, 0x2fb7, -v57
	v_add_f16_e32 v29, v46, v29
	v_lshrrev_b32_e32 v46, 16, v36
	v_mul_f16_e32 v59, 0x3770, v40
	v_mul_f16_sdwa v52, v40, v63 dst_sel:DWORD dst_unused:UNUSED_PAD src0_sel:WORD_1 src1_sel:DWORD
	v_add_f16_e32 v13, v65, v13
	v_add_f16_e32 v29, v41, v29
	v_fma_f16 v41, v46, 0x3b15, -v59
	v_fmamk_f16 v65, v36, 0x3b15, v52
	v_add_f16_e32 v29, v41, v29
	v_add_f16_e32 v13, v65, v13
	v_cmpx_gt_u32_e32 0x42, v8
	s_cbranch_execz .LBB0_12
; %bb.11:
	v_mul_f16_e32 v65, 0xb94e, v34
	v_mul_f16_e32 v66, 0x3bf1, v32
	v_mov_b32_e32 v69, 0xb94e
	v_mul_f16_e32 v67, 0xba95, v24
	v_mul_f16_e32 v68, 0x33a8, v23
	v_fmamk_f16 v70, v47, 0xb9fd, v65
	v_fmamk_f16 v72, v45, 0x2fb7, v66
	v_mul_f16_sdwa v73, v34, v69 dst_sel:DWORD dst_unused:UNUSED_PAD src0_sel:WORD_1 src1_sel:DWORD
	v_mul_f16_sdwa v64, v32, v64 dst_sel:DWORD dst_unused:UNUSED_PAD src0_sel:WORD_1 src1_sel:DWORD
	v_fmamk_f16 v75, v43, 0x388b, v67
	v_add_f16_sdwa v70, v25, v70 dst_sel:DWORD dst_unused:UNUSED_PAD src0_sel:WORD_1 src1_sel:DWORD
	v_mul_f16_e32 v71, 0x3770, v21
	v_fma_f16 v76, v39, 0xb9fd, -v73
	v_mul_f16_sdwa v74, v24, v50 dst_sel:DWORD dst_unused:UNUSED_PAD src0_sel:WORD_1 src1_sel:DWORD
	v_fmamk_f16 v77, v42, 0xbbc4, v68
	v_add_f16_e32 v70, v72, v70
	v_mov_b32_e32 v72, 0x33a8
	v_fma_f16 v78, v38, 0x2fb7, -v64
	v_add_f16_e32 v76, v25, v76
	v_mul_f16_e32 v80, 0xbb7b, v34
	v_add_f16_e32 v70, v75, v70
	v_fmamk_f16 v75, v44, 0x3b15, v71
	v_fma_f16 v79, v37, 0x388b, -v74
	v_mul_f16_sdwa v72, v23, v72 dst_sel:DWORD dst_unused:UNUSED_PAD src0_sel:WORD_1 src1_sel:DWORD
	v_add_f16_e32 v76, v78, v76
	v_add_f16_e32 v70, v77, v70
	v_fmamk_f16 v78, v47, 0xb5ac, v80
	v_mul_f16_e32 v81, 0x394e, v32
	v_mul_f16_e32 v41, 0xb5ac, v46
	v_mul_f16_sdwa v77, v21, v63 dst_sel:DWORD dst_unused:UNUSED_PAD src0_sel:WORD_1 src1_sel:DWORD
	v_fma_f16 v82, v35, 0xbbc4, -v72
	v_add_f16_e32 v76, v79, v76
	v_add_f16_e32 v70, v75, v70
	v_add_f16_sdwa v75, v25, v78 dst_sel:DWORD dst_unused:UNUSED_PAD src0_sel:WORD_1 src1_sel:DWORD
	v_fmamk_f16 v78, v45, 0xb9fd, v81
	v_mul_f16_e32 v79, 0x3770, v24
	v_fmamk_f16 v83, v40, 0xbb7b, v41
	v_add_f16_e32 v76, v82, v76
	v_fma_f16 v82, v33, 0x3b15, -v77
	v_add_f16_e32 v75, v78, v75
	v_fmamk_f16 v78, v43, 0x3b15, v79
	v_mul_f16_e32 v84, 0xbbf1, v23
	v_mov_b32_e32 v85, 0xbbf1
	v_mul_f16_sdwa v86, v40, v49 dst_sel:DWORD dst_unused:UNUSED_PAD src0_sel:WORD_1 src1_sel:DWORD
	v_add_f16_e32 v70, v83, v70
	v_add_f16_e32 v75, v78, v75
	v_fmamk_f16 v78, v42, 0x2fb7, v84
	v_mul_f16_sdwa v83, v34, v85 dst_sel:DWORD dst_unused:UNUSED_PAD src0_sel:WORD_1 src1_sel:DWORD
	v_add_f16_e32 v76, v82, v76
	v_mul_f16_e32 v82, 0x33a8, v21
	v_fma_f16 v87, v36, 0xb5ac, -v86
	v_add_f16_e32 v75, v78, v75
	v_fma_f16 v78, v39, 0x2fb7, -v83
	v_mul_f16_sdwa v88, v32, v48 dst_sel:DWORD dst_unused:UNUSED_PAD src0_sel:WORD_1 src1_sel:DWORD
	v_fmamk_f16 v89, v44, 0xbbc4, v82
	v_add_f16_e32 v76, v87, v76
	v_mov_b32_e32 v87, 0x3b7b
	v_add_f16_e32 v78, v25, v78
	v_fma_f16 v90, v38, 0xbbc4, -v88
	v_add_f16_e32 v75, v89, v75
	v_mul_f16_e32 v89, 0x388b, v47
	v_mul_f16_sdwa v87, v24, v87 dst_sel:DWORD dst_unused:UNUSED_PAD src0_sel:WORD_1 src1_sel:DWORD
	v_mul_f16_sdwa v63, v23, v63 dst_sel:DWORD dst_unused:UNUSED_PAD src0_sel:WORD_1 src1_sel:DWORD
	v_add_f16_e32 v78, v90, v78
	v_mul_f16_e32 v90, 0xb5ac, v45
	v_add_f16_e32 v62, v62, v89
	v_fma_f16 v89, v37, 0xb5ac, -v87
	v_mul_f16_e32 v91, 0x3a95, v40
	v_pk_add_f16 v16, v25, v16
	v_add_f16_e32 v61, v61, v90
	v_add_f16_sdwa v62, v25, v62 dst_sel:DWORD dst_unused:UNUSED_PAD src0_sel:WORD_1 src1_sel:DWORD
	v_add_f16_e32 v78, v89, v78
	v_fma_f16 v90, v35, 0x3b15, -v63
	v_mul_f16_e32 v89, 0xbbc4, v43
	v_fmamk_f16 v92, v46, 0x388b, v91
	v_add_f16_e32 v61, v61, v62
	v_mul_f16_e32 v62, 0x388b, v39
	v_add_f16_e32 v78, v90, v78
	v_mul_f16_e32 v90, 0xb5ac, v38
	v_add_f16_e32 v60, v60, v89
	v_mul_f16_sdwa v89, v21, v50 dst_sel:DWORD dst_unused:UNUSED_PAD src0_sel:WORD_1 src1_sel:DWORD
	v_sub_f16_e32 v56, v62, v56
	v_mul_f16_e32 v62, 0xb9fd, v42
	v_sub_f16_e32 v55, v90, v55
	v_add_f16_e32 v60, v60, v61
	v_fma_f16 v61, v33, 0x388b, -v89
	v_add_f16_e32 v56, v25, v56
	v_add_f16_e32 v58, v58, v62
	v_mul_f16_e32 v62, 0xbbc4, v37
	v_add_f16_e32 v75, v92, v75
	v_add_f16_e32 v61, v61, v78
	;; [unrolled: 1-line block ×3, first 2 shown]
	v_mul_f16_sdwa v78, v40, v69 dst_sel:DWORD dst_unused:UNUSED_PAD src0_sel:WORD_1 src1_sel:DWORD
	v_sub_f16_e32 v54, v62, v54
	v_mul_f16_e32 v62, 0xb9fd, v35
	v_mul_f16_e32 v56, 0x2fb7, v44
	v_add_f16_e32 v58, v58, v60
	v_fma_f16 v90, v36, 0xb9fd, -v78
	v_add_f16_e32 v54, v54, v55
	v_sub_f16_e32 v53, v62, v53
	v_add_f16_e32 v56, v57, v56
	v_mul_f16_e32 v57, 0x2fb7, v33
	v_mul_f16_e32 v60, 0x3b15, v46
	v_add_f16_e32 v55, v90, v61
	v_add_f16_e32 v53, v53, v54
	v_mul_f16_e32 v54, 0xb770, v34
	v_add_f16_e32 v56, v56, v58
	v_sub_f16_e32 v51, v57, v51
	v_add_f16_e32 v57, v59, v60
	v_mul_f16_e32 v58, 0x3b15, v36
	v_mov_b32_e32 v59, 0xb770
	v_fmamk_f16 v60, v47, 0x3b15, v54
	v_mul_f16_e32 v61, 0xba95, v32
	v_add_f16_e32 v51, v51, v53
	v_sub_f16_e32 v52, v58, v52
	v_mul_f16_sdwa v53, v34, v59 dst_sel:DWORD dst_unused:UNUSED_PAD src0_sel:WORD_1 src1_sel:DWORD
	v_add_f16_sdwa v58, v25, v60 dst_sel:DWORD dst_unused:UNUSED_PAD src0_sel:WORD_1 src1_sel:DWORD
	v_fmamk_f16 v59, v45, 0x388b, v61
	v_mul_f16_e32 v60, 0xbbf1, v24
	v_mul_f16_e32 v62, 0xbb7b, v23
	v_add_f16_e32 v56, v57, v56
	v_fma_f16 v57, v39, 0x3b15, -v53
	v_add_f16_e32 v58, v59, v58
	v_fmamk_f16 v59, v43, 0x2fb7, v60
	v_mul_f16_sdwa v50, v32, v50 dst_sel:DWORD dst_unused:UNUSED_PAD src0_sel:WORD_1 src1_sel:DWORD
	v_mul_f16_e32 v92, 0xb94e, v21
	v_add_f16_e32 v57, v25, v57
	v_mul_f16_sdwa v85, v24, v85 dst_sel:DWORD dst_unused:UNUSED_PAD src0_sel:WORD_1 src1_sel:DWORD
	v_add_f16_e32 v58, v59, v58
	v_fmamk_f16 v59, v42, 0xb5ac, v62
	v_fma_f16 v90, v38, 0x388b, -v50
	v_pk_add_f16 v16, v16, v17
	v_mul_f16_sdwa v49, v23, v49 dst_sel:DWORD dst_unused:UNUSED_PAD src0_sel:WORD_1 src1_sel:DWORD
	v_fmac_f16_e32 v83, 0x2fb7, v39
	v_add_f16_e32 v58, v59, v58
	v_fmamk_f16 v59, v44, 0xb9fd, v92
	v_add_f16_e32 v57, v90, v57
	v_fma_f16 v90, v37, 0x2fb7, -v85
	v_pk_add_f16 v14, v16, v14
	v_mul_f16_e32 v93, 0xb3a8, v40
	v_add_f16_e32 v58, v59, v58
	v_fma_f16 v59, v47, 0xb9fd, -v65
	v_add_f16_e32 v57, v90, v57
	v_fma_f16 v90, v35, 0xb5ac, -v49
	v_mul_f16_sdwa v69, v21, v69 dst_sel:DWORD dst_unused:UNUSED_PAD src0_sel:WORD_1 src1_sel:DWORD
	v_add_f16_e32 v51, v52, v51
	v_add_f16_sdwa v52, v25, v59 dst_sel:DWORD dst_unused:UNUSED_PAD src0_sel:WORD_1 src1_sel:DWORD
	v_fma_f16 v59, v45, 0x2fb7, -v66
	v_add_f16_e32 v17, v25, v83
	v_fmac_f16_e32 v88, 0xbbc4, v38
	v_pk_add_f16 v14, v14, v15
	v_fmamk_f16 v65, v46, 0xbbc4, v93
	v_add_f16_e32 v57, v90, v57
	v_fma_f16 v90, v33, 0xb9fd, -v69
	v_fmac_f16_e32 v73, 0xb9fd, v39
	v_mul_f16_sdwa v48, v40, v48 dst_sel:DWORD dst_unused:UNUSED_PAD src0_sel:WORD_1 src1_sel:DWORD
	v_add_f16_e32 v52, v59, v52
	v_fma_f16 v59, v47, 0xb5ac, -v80
	v_add_f16_e32 v17, v88, v17
	v_fmac_f16_e32 v87, 0xb5ac, v37
	v_fma_f16 v47, v47, 0x3b15, -v54
	v_pk_add_f16 v6, v14, v6
	v_add_f16_e32 v58, v65, v58
	v_add_f16_e32 v57, v90, v57
	v_fma_f16 v65, v43, 0x388b, -v67
	v_add_f16_e32 v66, v25, v73
	v_fmac_f16_e32 v64, 0x2fb7, v38
	v_fma_f16 v67, v36, 0xbbc4, -v48
	v_add_f16_sdwa v59, v25, v59 dst_sel:DWORD dst_unused:UNUSED_PAD src0_sel:WORD_1 src1_sel:DWORD
	v_fma_f16 v73, v45, 0xb9fd, -v81
	v_add_f16_e32 v17, v87, v17
	v_fmac_f16_e32 v63, 0x3b15, v35
	v_add_f16_sdwa v47, v25, v47 dst_sel:DWORD dst_unused:UNUSED_PAD src0_sel:WORD_1 src1_sel:DWORD
	v_fma_f16 v45, v45, 0x388b, -v61
	v_fmac_f16_e32 v53, 0x3b15, v39
	v_pk_add_f16 v6, v6, v7
	v_add_f16_e32 v52, v65, v52
	v_add_f16_e32 v64, v64, v66
	v_fmac_f16_e32 v74, 0x388b, v37
	v_fma_f16 v65, v42, 0xbbc4, -v68
	v_add_f16_e32 v59, v73, v59
	v_fma_f16 v66, v43, 0x3b15, -v79
	v_add_f16_e32 v57, v67, v57
	v_pk_mul_f16 v67, 0x2fb7b5ac, v39
	v_add_f16_e32 v17, v63, v17
	v_add_f16_e32 v45, v45, v47
	v_fmac_f16_e32 v89, 0x388b, v33
	v_fma_f16 v43, v43, 0x2fb7, -v60
	v_add_f16_e32 v53, v25, v53
	v_fmac_f16_e32 v50, 0x388b, v38
	v_pk_add_f16 v4, v6, v4
	v_add_f16_e32 v64, v74, v64
	v_fmac_f16_e32 v72, 0xbbc4, v35
	v_add_f16_e32 v52, v65, v52
	v_add_f16_e32 v59, v66, v59
	v_fma_f16 v65, v42, 0x2fb7, -v84
	v_pk_mul_f16 v68, 0xbbc4b9fd, v38
	v_pk_fma_f16 v74, 0xbb7bbbf1, v34, v67 op_sel:[0,0,1] op_sel_hi:[1,1,0]
	v_pk_fma_f16 v16, 0xbb7bbbf1, v34, v67 op_sel:[0,0,1] op_sel_hi:[1,1,0] neg_lo:[0,1,0] neg_hi:[0,1,0]
	v_add_f16_e32 v14, v89, v17
	v_add_f16_e32 v17, v43, v45
	;; [unrolled: 1-line block ×3, first 2 shown]
	v_fmac_f16_e32 v85, 0x2fb7, v37
	v_pk_add_f16 v4, v4, v5
	v_add_f16_e32 v64, v72, v64
	v_add_f16_e32 v59, v65, v59
	v_fma_f16 v65, v44, 0xbbc4, -v82
	v_pk_mul_f16 v72, 0xb5ac3b15, v37
	v_pk_fma_f16 v15, 0x394eb3a8, v32, v68 op_sel:[0,0,1] op_sel_hi:[1,1,0] neg_lo:[0,1,0] neg_hi:[0,1,0]
	v_pk_fma_f16 v68, 0x394eb3a8, v32, v68 op_sel:[0,0,1] op_sel_hi:[1,1,0]
	v_add_f16_e32 v6, v85, v43
	v_fmac_f16_e32 v49, 0xb5ac, v35
	v_bfi_b32 v5, 0xffff, v74, v16
	v_pk_add_f16 v2, v4, v2
	v_add_f16_e32 v59, v65, v59
	v_fma_f16 v65, v46, 0x388b, -v91
	v_pk_mul_f16 v73, 0x3b152fb7, v35
	v_pk_fma_f16 v80, 0x37703b7b, v24, v72 op_sel:[0,0,1] op_sel_hi:[1,1,0] neg_lo:[0,1,0] neg_hi:[0,1,0]
	v_pk_fma_f16 v72, 0x37703b7b, v24, v72 op_sel:[0,0,1] op_sel_hi:[1,1,0]
	v_add_f16_e32 v6, v49, v6
	v_fmac_f16_e32 v69, 0xb9fd, v33
	v_pk_add_f16 v4, v25, v5 op_sel:[1,0] op_sel_hi:[0,1]
	v_bfi_b32 v5, 0xffff, v68, v15
	v_pk_add_f16 v2, v2, v3
	v_add_f16_e32 v59, v65, v59
	v_pk_mul_f16 v65, 0x388bbbc4, v33
	v_add_f16_sdwa v79, v25, v16 dst_sel:DWORD dst_unused:UNUSED_PAD src0_sel:WORD_1 src1_sel:DWORD
	v_pk_fma_f16 v63, 0xbbf13770, v23, v73 op_sel:[0,0,1] op_sel_hi:[1,1,0] neg_lo:[0,1,0] neg_hi:[0,1,0]
	v_pk_fma_f16 v73, 0xbbf13770, v23, v73 op_sel:[0,0,1] op_sel_hi:[1,1,0]
	v_fma_f16 v42, v42, 0xb5ac, -v62
	v_add_f16_e32 v6, v69, v6
	v_fmac_f16_e32 v48, 0xbbc4, v36
	v_pk_add_f16 v3, v5, v4
	v_bfi_b32 v4, 0xffff, v72, v80
	v_pk_add_f16 v0, v2, v0
	v_pk_mul_f16 v2, 0xbbc4, v39 op_sel_hi:[0,1]
	v_fmac_f16_e32 v77, 0x3b15, v33
	v_add_f16_e32 v79, v15, v79
	v_pk_fma_f16 v61, 0x33a8ba95, v21, v65 op_sel:[0,0,1] op_sel_hi:[1,1,0] neg_lo:[0,1,0] neg_hi:[0,1,0]
	v_pk_fma_f16 v65, 0x33a8ba95, v21, v65 op_sel:[0,0,1] op_sel_hi:[1,1,0]
	v_add_f16_e32 v7, v42, v17
	v_fma_f16 v17, v44, 0xb9fd, -v92
	v_add_f16_e32 v5, v48, v6
	v_mul_u32_u24_e32 v6, 48, v8
	v_pk_add_f16 v3, v4, v3
	v_bfi_b32 v4, 0xffff, v73, v63
	v_pk_add_f16 v0, v0, v1
	v_pk_fma_f16 v1, 0xb3a8, v34, v2 op_sel:[0,0,1] op_sel_hi:[0,1,0] neg_lo:[0,1,0] neg_hi:[0,1,0]
	v_pk_mul_f16 v15, 0x3b15, v38 op_sel_hi:[0,1]
	v_pk_add_f16 v67, v25, v74 op_sel:[1,0] op_sel_hi:[0,1]
	v_add_f16_e32 v64, v77, v64
	v_pk_mul_f16 v77, 0xb9fd388b, v36
	v_add_f16_e32 v7, v17, v7
	v_add3_u32 v6, v20, v6, v12
	v_pk_add_f16 v3, v4, v3
	v_bfi_b32 v4, 0xffff, v65, v61
	v_pk_add_f16 v1, v25, v1 op_sel:[1,0] op_sel_hi:[0,1]
	v_pk_fma_f16 v17, 0x3770, v32, v15 op_sel:[0,0,1] op_sel_hi:[0,1,0] neg_lo:[0,1,0] neg_hi:[0,1,0]
	v_pk_mul_f16 v20, 0xb9fd, v37 op_sel_hi:[0,1]
	v_pk_fma_f16 v2, 0xb3a8, v34, v2 op_sel:[0,0,1] op_sel_hi:[0,1,0]
	v_pk_add_f16 v67, v68, v67
	v_pk_fma_f16 v47, 0x3a95b94e, v40, v77 op_sel:[0,0,1] op_sel_hi:[1,1,0] neg_lo:[0,1,0] neg_hi:[0,1,0]
	v_fma_f16 v16, v46, 0xbbc4, -v93
	v_pk_add_f16 v3, v4, v3
	v_pk_fma_f16 v4, 0x3a95b94e, v40, v77 op_sel:[0,0,1] op_sel_hi:[1,1,0]
	v_pk_add_f16 v1, v17, v1
	v_pk_fma_f16 v17, 0xb94e, v24, v20 op_sel:[0,0,1] op_sel_hi:[0,1,0] neg_lo:[0,1,0] neg_hi:[0,1,0]
	v_pk_mul_f16 v34, 0x388b, v35 op_sel_hi:[0,1]
	v_pk_add_f16 v2, v25, v2 op_sel:[1,0] op_sel_hi:[0,1]
	v_pk_fma_f16 v15, 0x3770, v32, v15 op_sel:[0,0,1] op_sel_hi:[0,1,0]
	v_pk_add_f16 v67, v72, v67
	v_add_f16_e32 v7, v16, v7
	v_pack_b32_f16 v16, v57, v58
	v_bfi_b32 v4, 0xffff, v4, v47
	v_pk_add_f16 v1, v17, v1
	v_pk_fma_f16 v17, 0x3a95, v23, v34 op_sel:[0,0,1] op_sel_hi:[0,1,0] neg_lo:[0,1,0] neg_hi:[0,1,0]
	v_pk_mul_f16 v25, 0xb5ac, v33 op_sel_hi:[0,1]
	v_pk_add_f16 v2, v15, v2
	v_pk_fma_f16 v15, 0xb94e, v24, v20 op_sel:[0,0,1] op_sel_hi:[0,1,0]
	v_mul_f16_e32 v66, 0xbb7b, v40
	v_pk_add_f16 v67, v73, v67
	ds_write2_b32 v6, v0, v16 offset1:1
	v_pk_add_f16 v0, v4, v3
	v_pk_add_f16 v1, v17, v1
	v_pk_fma_f16 v3, 0xbb7b, v21, v25 op_sel:[0,0,1] op_sel_hi:[0,1,0] neg_lo:[0,1,0] neg_hi:[0,1,0]
	v_pk_add_f16 v2, v15, v2
	v_pk_fma_f16 v4, 0x3a95, v23, v34 op_sel:[0,0,1] op_sel_hi:[0,1,0]
	v_pk_mul_f16 v54, 0x3a95b94e, v40
	v_fma_f16 v71, v44, 0x3b15, -v71
	v_bfi_b32 v16, 0xffff, v66, v67
	v_add_f16_e32 v79, v80, v79
	v_pk_add_f16 v1, v3, v1
	v_pk_mul_f16 v3, 0x2fb7, v36 op_sel_hi:[0,1]
	v_pk_add_f16 v2, v4, v2
	v_pk_fma_f16 v4, 0xbb7b, v21, v25 op_sel:[0,0,1] op_sel_hi:[0,1,0]
	v_pk_add_f16 v16, v41, v16 neg_lo:[0,1] neg_hi:[0,1]
	v_pk_add_f16 v17, v65, v67
	v_pack_b32_f16 v20, v71, v77
	v_bfi_b32 v21, 0xffff, v52, v54
	v_add_f16_e32 v79, v63, v79
	v_pk_fma_f16 v23, 0x3bf1, v40, v3 op_sel:[0,0,1] op_sel_hi:[0,1,0] neg_lo:[0,1,0] neg_hi:[0,1,0]
	v_pk_add_f16 v2, v4, v2
	v_pk_fma_f16 v3, 0x3bf1, v40, v3 op_sel:[0,0,1] op_sel_hi:[0,1,0]
	v_fmac_f16_e32 v86, 0xb5ac, v36
	v_bfi_b32 v4, 0xffff, v16, v17
	v_pk_add_f16 v16, v20, v21
	v_add_f16_e32 v79, v61, v79
	v_fmac_f16_e32 v78, 0xb9fd, v36
	v_alignbit_b32 v15, v75, v0, 16
	v_pack_b32_f16 v0, v55, v0
	v_pk_add_f16 v1, v23, v1
	v_pk_add_f16 v2, v3, v2
	v_add_f16_e32 v64, v86, v64
	v_pk_add_f16 v4, v4, v16
	v_add_f16_e32 v79, v47, v79
	v_add_f16_e32 v14, v78, v14
	v_pack_b32_f16 v3, v51, v56
	ds_write2_b32 v6, v0, v15 offset0:3 offset1:4
	v_pack_b32_f16 v0, v76, v70
	v_alignbit_b32 v15, v1, v2, 16
	v_alignbit_b32 v1, v2, v1, 16
	;; [unrolled: 1-line block ×3, first 2 shown]
	v_pack_b32_f16 v4, v64, v4
	v_pack_b32_f16 v14, v14, v79
	v_perm_b32 v16, v29, v13, 0x5040100
	v_pack_b32_f16 v5, v5, v7
	ds_write2_b32 v6, v3, v0 offset0:2 offset1:5
	ds_write2_b32 v6, v1, v15 offset0:6 offset1:7
	;; [unrolled: 1-line block ×4, first 2 shown]
	ds_write_b32 v6, v5 offset:48
.LBB0_12:
	s_or_b32 exec_lo, exec_lo, s1
	v_and_b32_e32 v0, 0xff, v8
	v_mov_b32_e32 v1, 10
	s_waitcnt lgkmcnt(0)
	s_barrier
	buffer_gl0_inv
	v_mul_lo_u16 v0, 0x4f, v0
	v_mov_b32_e32 v36, 2
	v_cmp_gt_u32_e64 s0, 0x41, v8
	v_lshrrev_b16 v34, 10, v0
	v_mul_lo_u16 v0, v34, 13
	v_and_b32_e32 v34, 0xffff, v34
	v_sub_nc_u16 v35, v8, v0
	v_mad_u32_u24 v34, 0x23c, v34, 0
	v_mul_u32_u24_sdwa v0, v35, v1 dst_sel:DWORD dst_unused:UNUSED_PAD src0_sel:BYTE_0 src1_sel:DWORD
	v_lshlrev_b32_sdwa v35, v36, v35 dst_sel:DWORD dst_unused:UNUSED_PAD src0_sel:DWORD src1_sel:BYTE_0
	v_lshlrev_b32_e32 v14, 2, v0
	v_add3_u32 v34, v34, v35, v12
	s_clause 0x2
	global_load_dwordx4 v[0:3], v14, s[8:9]
	global_load_dwordx4 v[4:7], v14, s[8:9] offset:16
	global_load_dwordx2 v[14:15], v14, s[8:9] offset:32
	ds_read2_b32 v[20:21], v19 offset0:134 offset1:212
	ds_read2_b32 v[18:19], v18 offset0:34 offset1:112
	;; [unrolled: 1-line block ×5, first 2 shown]
	ds_read_b32 v32, v26
	ds_read_u16 v33, v28 offset:1562
	s_waitcnt vmcnt(0) lgkmcnt(0)
	s_barrier
	buffer_gl0_inv
	v_lshrrev_b32_e32 v37, 16, v21
	v_lshrrev_b32_e32 v38, 16, v18
	;; [unrolled: 1-line block ×9, first 2 shown]
	v_mul_f16_sdwa v12, v0, v36 dst_sel:DWORD dst_unused:UNUSED_PAD src0_sel:WORD_1 src1_sel:DWORD
	v_mul_f16_sdwa v35, v0, v24 dst_sel:DWORD dst_unused:UNUSED_PAD src0_sel:WORD_1 src1_sel:DWORD
	;; [unrolled: 1-line block ×8, first 2 shown]
	v_mul_f16_sdwa v51, v33, v4 dst_sel:DWORD dst_unused:UNUSED_PAD src0_sel:DWORD src1_sel:WORD_1
	v_mul_f16_sdwa v52, v4, v20 dst_sel:DWORD dst_unused:UNUSED_PAD src0_sel:WORD_1 src1_sel:DWORD
	v_mul_f16_sdwa v53, v37, v5 dst_sel:DWORD dst_unused:UNUSED_PAD src0_sel:DWORD src1_sel:WORD_1
	v_mul_f16_sdwa v54, v21, v5 dst_sel:DWORD dst_unused:UNUSED_PAD src0_sel:DWORD src1_sel:WORD_1
	;; [unrolled: 1-line block ×10, first 2 shown]
	v_fma_f16 v12, v0, v24, -v12
	v_fmac_f16_e32 v35, v0, v36
	v_fma_f16 v0, v1, v25, -v45
	v_fmac_f16_e32 v46, v1, v42
	;; [unrolled: 2-line block ×8, first 2 shown]
	v_fma_f16 v7, v16, v14, -v59
	v_fma_f16 v19, v17, v15, -v61
	v_fmac_f16_e32 v62, v41, v15
	v_fmac_f16_e32 v60, v40, v14
	v_add_f16_e32 v14, v12, v32
	v_add_f16_sdwa v15, v35, v32 dst_sel:DWORD dst_unused:UNUSED_PAD src0_sel:DWORD src1_sel:WORD_1
	v_add_f16_e32 v16, v12, v19
	v_sub_f16_e32 v12, v12, v19
	v_sub_f16_e32 v18, v35, v62
	v_add_f16_e32 v20, v0, v7
	v_sub_f16_e32 v22, v0, v7
	v_add_f16_e32 v0, v14, v0
	v_add_f16_e32 v14, v15, v46
	;; [unrolled: 1-line block ×4, first 2 shown]
	v_sub_f16_e32 v23, v46, v60
	v_add_f16_e32 v24, v1, v6
	v_sub_f16_e32 v33, v1, v6
	v_sub_f16_e32 v35, v48, v58
	;; [unrolled: 1-line block ×6, first 2 shown]
	v_mul_f16_e32 v15, 0xb853, v18
	v_mul_f16_e32 v44, 0xb853, v12
	v_mul_f16_e32 v45, 0xbb47, v18
	v_mul_f16_e32 v46, 0xbb47, v12
	v_mul_f16_e32 v47, 0xbbeb, v18
	v_mul_f16_e32 v49, 0xbbeb, v12
	v_mul_f16_e32 v53, 0xba0c, v12
	v_add_f16_e32 v0, v0, v1
	v_add_f16_e32 v1, v14, v48
	v_mul_f16_e32 v51, 0xba0c, v18
	v_mul_f16_e32 v18, 0xb482, v18
	;; [unrolled: 1-line block ×3, first 2 shown]
	v_add_f16_e32 v25, v48, v58
	v_add_f16_e32 v36, v2, v5
	;; [unrolled: 1-line block ×5, first 2 shown]
	v_mul_f16_e32 v55, 0xbb47, v23
	v_mul_f16_e32 v57, 0xbb47, v22
	v_mul_f16_e32 v59, 0xba0c, v23
	v_mul_f16_e32 v61, 0xba0c, v22
	v_mul_f16_e32 v63, 0x3482, v23
	v_mul_f16_e32 v64, 0x3482, v22
	v_mul_f16_e32 v65, 0x3beb, v23
	v_mul_f16_e32 v66, 0x3beb, v22
	v_mul_f16_e32 v23, 0x3853, v23
	v_mul_f16_e32 v22, 0x3853, v22
	v_mul_f16_e32 v67, 0xbbeb, v35
	v_mul_f16_e32 v68, 0xbbeb, v33
	v_mul_f16_e32 v69, 0x3482, v35
	v_mul_f16_e32 v70, 0x3482, v33
	v_mul_f16_e32 v71, 0x3b47, v35
	v_mul_f16_e32 v72, 0x3b47, v33
	v_mul_f16_e32 v73, 0xb853, v35
	v_mul_f16_e32 v74, 0xb853, v33
	v_mul_f16_e32 v35, 0xba0c, v35
	v_mul_f16_e32 v33, 0xba0c, v33
	v_mul_f16_e32 v75, 0xba0c, v37
	v_mul_f16_e32 v76, 0x3beb, v37
	v_mul_f16_e32 v77, 0xb853, v37
	v_mul_f16_e32 v78, 0xb482, v37
	v_mul_f16_e32 v37, 0x3b47, v37
	v_mul_f16_e32 v79, 0xba0c, v38
	v_mul_f16_e32 v80, 0x3beb, v38
	v_mul_f16_e32 v81, 0xb853, v38
	v_mul_f16_e32 v82, 0xb482, v38
	v_mul_f16_e32 v38, 0x3b47, v38
	v_mul_f16_e32 v83, 0xb482, v40
	v_mul_f16_e32 v84, 0x3853, v40
	v_mul_f16_e32 v85, 0xba0c, v40
	v_mul_f16_e32 v86, 0x3b47, v40
	v_mul_f16_e32 v40, 0xbbeb, v40
	v_mul_f16_e32 v87, 0xb482, v42
	v_mul_f16_e32 v88, 0x3853, v42
	v_mul_f16_e32 v89, 0xba0c, v42
	v_mul_f16_e32 v90, 0x3b47, v42
	v_mul_f16_e32 v42, 0xbbeb, v42
	v_fma_f16 v14, v16, 0x3abb, -v15
	v_fmamk_f16 v48, v17, 0x3abb, v44
	v_fmac_f16_e32 v15, 0x3abb, v16
	v_fma_f16 v44, v17, 0x3abb, -v44
	v_fma_f16 v91, v16, 0x36a6, -v45
	v_fmamk_f16 v92, v17, 0x36a6, v46
	v_fmac_f16_e32 v45, 0x36a6, v16
	v_fma_f16 v46, v17, 0x36a6, -v46
	;; [unrolled: 4-line block ×3, first 2 shown]
	v_fmamk_f16 v96, v17, 0xb93d, v53
	v_add_f16_e32 v0, v0, v2
	v_add_f16_e32 v1, v1, v50
	v_fma_f16 v95, v16, 0xb93d, -v51
	v_fmac_f16_e32 v51, 0xb93d, v16
	v_fma_f16 v53, v17, 0xb93d, -v53
	v_fma_f16 v97, v16, 0xbbad, -v18
	v_fmamk_f16 v98, v17, 0xbbad, v12
	v_fmac_f16_e32 v18, 0xbbad, v16
	v_fma_f16 v12, v17, 0xbbad, -v12
	v_fma_f16 v16, v20, 0x36a6, -v55
	v_fmamk_f16 v17, v21, 0x36a6, v57
	;; [unrolled: 4-line block ×10, first 2 shown]
	v_fmac_f16_e32 v73, 0x3abb, v24
	v_fma_f16 v74, v25, 0x3abb, -v74
	v_fma_f16 v113, v24, 0xb93d, -v35
	v_fmac_f16_e32 v35, 0xb93d, v24
	v_fmamk_f16 v24, v25, 0xb93d, v33
	v_fma_f16 v25, v25, 0xb93d, -v33
	v_fma_f16 v33, v36, 0xb93d, -v75
	v_fmac_f16_e32 v75, 0xb93d, v36
	v_fma_f16 v114, v36, 0xb08e, -v76
	v_fmac_f16_e32 v76, 0xb08e, v36
	;; [unrolled: 2-line block ×5, first 2 shown]
	v_fmamk_f16 v36, v39, 0xb93d, v79
	v_fma_f16 v79, v39, 0xb93d, -v79
	v_fmamk_f16 v118, v39, 0xb08e, v80
	v_fma_f16 v80, v39, 0xb08e, -v80
	;; [unrolled: 2-line block ×5, first 2 shown]
	v_fma_f16 v39, v41, 0xbbad, -v83
	v_fmac_f16_e32 v83, 0xbbad, v41
	v_fma_f16 v122, v41, 0x3abb, -v84
	v_fmac_f16_e32 v84, 0x3abb, v41
	;; [unrolled: 2-line block ×5, first 2 shown]
	v_fmamk_f16 v41, v43, 0xbbad, v87
	v_fma_f16 v87, v43, 0xbbad, -v87
	v_fmamk_f16 v126, v43, 0x3abb, v88
	v_fma_f16 v88, v43, 0x3abb, -v88
	;; [unrolled: 2-line block ×5, first 2 shown]
	v_add_f16_e32 v2, v14, v32
	v_add_f16_sdwa v14, v48, v32 dst_sel:DWORD dst_unused:UNUSED_PAD src0_sel:DWORD src1_sel:WORD_1
	v_add_f16_e32 v15, v15, v32
	v_add_f16_sdwa v43, v44, v32 dst_sel:DWORD dst_unused:UNUSED_PAD src0_sel:DWORD src1_sel:WORD_1
	;; [unrolled: 2-line block ×6, first 2 shown]
	v_add_f16_sdwa v93, v96, v32 dst_sel:DWORD dst_unused:UNUSED_PAD src0_sel:DWORD src1_sel:WORD_1
	v_add_f16_e32 v0, v0, v3
	v_add_f16_e32 v1, v1, v52
	;; [unrolled: 1-line block ×4, first 2 shown]
	v_add_f16_sdwa v53, v53, v32 dst_sel:DWORD dst_unused:UNUSED_PAD src0_sel:DWORD src1_sel:WORD_1
	v_add_f16_e32 v94, v97, v32
	v_add_f16_sdwa v95, v98, v32 dst_sel:DWORD dst_unused:UNUSED_PAD src0_sel:DWORD src1_sel:WORD_1
	v_add_f16_e32 v18, v18, v32
	;; [unrolled: 2-line block ×3, first 2 shown]
	v_add_f16_e32 v3, v17, v14
	v_add_f16_e32 v14, v55, v15
	v_add_f16_e32 v15, v57, v43
	v_add_f16_e32 v16, v99, v44
	v_add_f16_e32 v17, v100, v48
	v_add_f16_e32 v32, v59, v45
	v_add_f16_e32 v43, v61, v46
	v_add_f16_e32 v44, v101, v50
	v_add_f16_e32 v45, v102, v91
	v_add_f16_e32 v46, v63, v47
	v_add_f16_e32 v47, v64, v49
	v_add_f16_e32 v49, v104, v93
	v_add_f16_e32 v0, v0, v4
	v_add_f16_e32 v1, v1, v54
	v_add_f16_e32 v48, v103, v92
	v_add_f16_e32 v50, v65, v51
	v_add_f16_e32 v51, v66, v53
	v_add_f16_e32 v52, v105, v94
	v_add_f16_e32 v53, v106, v95
	v_add_f16_e32 v18, v23, v18
	v_add_f16_e32 v12, v20, v12
	v_add_f16_e32 v2, v21, v2
	v_add_f16_e32 v3, v22, v3
	v_add_f16_e32 v4, v67, v14
	v_add_f16_e32 v14, v68, v15
	v_add_f16_e32 v15, v107, v16
	v_add_f16_e32 v16, v108, v17
	v_add_f16_e32 v20, v70, v43
	v_add_f16_e32 v21, v109, v44
	v_add_f16_e32 v22, v110, v45
	v_add_f16_e32 v44, v112, v49
	v_add_f16_e32 v0, v0, v5
	v_add_f16_e32 v1, v1, v56
	v_add_f16_e32 v17, v69, v32
	v_add_f16_e32 v23, v71, v46
	v_add_f16_e32 v32, v72, v47
	v_add_f16_e32 v43, v111, v48
	v_add_f16_e32 v47, v113, v52
	v_add_f16_e32 v24, v24, v53
	v_add_f16_e32 v45, v73, v50
	v_add_f16_e32 v46, v74, v51
	v_add_f16_e32 v18, v35, v18
	v_add_f16_e32 v12, v25, v12
	v_add_f16_e32 v2, v33, v2
	v_add_f16_e32 v4, v75, v4
	v_add_f16_e32 v5, v79, v14
	v_add_f16_e32 v14, v114, v15
	v_add_f16_e32 v15, v118, v16
	v_add_f16_e32 v20, v80, v20
	v_add_f16_e32 v21, v115, v21
	v_add_f16_e32 v22, v119, v22
	v_add_f16_e32 v33, v120, v44
	v_add_f16_e32 v6, v0, v6
	v_add_f16_e32 v44, v1, v58
	v_add_f16_e32 v23, v77, v23
	v_add_f16_e32 v25, v81, v32
	v_add_f16_e32 v32, v116, v43
	v_add_f16_e32 v43, v117, v47
	v_add_f16_e32 v24, v121, v24
	v_add_f16_e32 v3, v36, v3
	v_add_f16_e32 v17, v76, v17
	v_add_f16_e32 v35, v78, v45
	v_add_f16_e32 v36, v82, v46
	v_add_f16_e32 v37, v37, v18
	v_add_f16_e32 v38, v38, v12
	v_add_f16_e32 v12, v83, v4
	v_add_f16_e32 v16, v87, v5
	v_add_f16_e32 v4, v122, v14
	v_add_f16_e32 v5, v126, v15
	v_add_f16_e32 v15, v88, v20
	v_add_f16_e32 v20, v123, v21
	v_add_f16_e32 v21, v127, v22
	v_add_f16_e32 v6, v6, v7
	v_add_f16_e32 v7, v44, v60
	v_add_f16_e32 v39, v39, v2
	v_add_f16_e32 v2, v85, v23
	v_add_f16_e32 v18, v89, v25
	v_add_f16_e32 v22, v124, v32
	v_add_f16_e32 v23, v128, v33
	v_add_f16_e32 v25, v125, v43
	v_add_f16_e32 v24, v129, v24
	v_add_f16_e32 v41, v41, v3
	v_add_f16_e32 v3, v84, v17
	v_add_f16_e32 v1, v86, v35
	v_add_f16_e32 v17, v90, v36
	v_add_f16_e32 v0, v40, v37
	v_add_f16_e32 v14, v42, v38
	v_pack_b32_f16 v4, v4, v5
	v_pack_b32_f16 v5, v20, v21
	v_add_f16_e32 v6, v6, v19
	v_add_f16_e32 v7, v7, v62
	v_pack_b32_f16 v20, v22, v23
	v_pack_b32_f16 v21, v25, v24
	;; [unrolled: 1-line block ×8, first 2 shown]
	ds_write2_b32 v34, v4, v5 offset0:26 offset1:39
	v_pack_b32_f16 v4, v6, v7
	ds_write2_b32 v34, v20, v21 offset0:52 offset1:65
	ds_write2_b32 v34, v22, v23 offset0:78 offset1:91
	;; [unrolled: 1-line block ×3, first 2 shown]
	ds_write_b32 v34, v25 offset:520
	ds_write2_b32 v34, v4, v32 offset1:13
	s_waitcnt lgkmcnt(0)
	s_barrier
	buffer_gl0_inv
	ds_read2_b32 v[6:7], v30 offset0:15 offset1:158
	ds_read2_b32 v[4:5], v31 offset0:45 offset1:188
	ds_read_b32 v20, v26
	ds_read_b32 v21, v28 offset:2860
	s_and_saveexec_b32 s1, s0
	s_cbranch_execz .LBB0_14
; %bb.13:
	v_add_nc_u32_e32 v2, 0x400, v28
	v_add_nc_u32_e32 v12, 0xa00, v28
	ds_read2_b32 v[0:1], v28 offset0:78 offset1:221
	ds_read2_b32 v[2:3], v2 offset0:108 offset1:251
	;; [unrolled: 1-line block ×3, first 2 shown]
	s_waitcnt lgkmcnt(2)
	v_lshrrev_b32_e32 v14, 16, v0
	v_lshrrev_b32_e32 v17, 16, v1
	s_waitcnt lgkmcnt(1)
	v_lshrrev_b32_e32 v15, 16, v3
	s_waitcnt lgkmcnt(0)
	v_lshrrev_b32_e32 v16, 16, v12
	v_lshrrev_b32_e32 v29, 16, v13
	;; [unrolled: 1-line block ×3, first 2 shown]
.LBB0_14:
	s_or_b32 exec_lo, exec_lo, s1
	v_mul_u32_u24_e32 v19, 5, v8
	s_waitcnt lgkmcnt(0)
	v_lshrrev_b32_e32 v32, 16, v21
	v_lshrrev_b32_e32 v33, 16, v5
	;; [unrolled: 1-line block ×4, first 2 shown]
	v_lshlrev_b32_e32 v19, 2, v19
	v_lshrrev_b32_e32 v35, 16, v6
	v_lshrrev_b32_e32 v31, 16, v20
	v_add_nc_u32_e32 v37, 0x800, v28
	s_clause 0x1
	global_load_dwordx4 v[22:25], v19, s[8:9] offset:520
	global_load_dword v30, v19, s[8:9] offset:536
	v_add_nc_u32_e32 v19, 0x400, v28
	s_waitcnt vmcnt(0)
	s_barrier
	buffer_gl0_inv
	v_mul_f16_sdwa v40, v23, v36 dst_sel:DWORD dst_unused:UNUSED_PAD src0_sel:WORD_1 src1_sel:DWORD
	v_mul_f16_sdwa v41, v23, v7 dst_sel:DWORD dst_unused:UNUSED_PAD src0_sel:WORD_1 src1_sel:DWORD
	v_mul_f16_sdwa v42, v24, v34 dst_sel:DWORD dst_unused:UNUSED_PAD src0_sel:WORD_1 src1_sel:DWORD
	v_mul_f16_sdwa v43, v24, v4 dst_sel:DWORD dst_unused:UNUSED_PAD src0_sel:WORD_1 src1_sel:DWORD
	v_mul_f16_sdwa v44, v25, v33 dst_sel:DWORD dst_unused:UNUSED_PAD src0_sel:WORD_1 src1_sel:DWORD
	v_mul_f16_sdwa v45, v25, v5 dst_sel:DWORD dst_unused:UNUSED_PAD src0_sel:WORD_1 src1_sel:DWORD
	v_mul_f16_sdwa v46, v30, v32 dst_sel:DWORD dst_unused:UNUSED_PAD src0_sel:WORD_1 src1_sel:DWORD
	v_mul_f16_sdwa v47, v30, v21 dst_sel:DWORD dst_unused:UNUSED_PAD src0_sel:WORD_1 src1_sel:DWORD
	v_mul_f16_sdwa v38, v22, v35 dst_sel:DWORD dst_unused:UNUSED_PAD src0_sel:WORD_1 src1_sel:DWORD
	v_mul_f16_sdwa v39, v22, v6 dst_sel:DWORD dst_unused:UNUSED_PAD src0_sel:WORD_1 src1_sel:DWORD
	v_fma_f16 v7, v23, v7, -v40
	v_fmac_f16_e32 v41, v23, v36
	v_fma_f16 v4, v24, v4, -v42
	v_fmac_f16_e32 v43, v24, v34
	;; [unrolled: 2-line block ×5, first 2 shown]
	v_add_f16_e32 v23, v7, v5
	v_add_f16_e32 v30, v41, v45
	;; [unrolled: 1-line block ×5, first 2 shown]
	v_sub_f16_e32 v24, v41, v45
	v_add_f16_e32 v25, v31, v41
	v_sub_f16_e32 v7, v7, v5
	v_add_f16_e32 v32, v6, v4
	;; [unrolled: 2-line block ×3, first 2 shown]
	v_sub_f16_e32 v4, v4, v21
	v_fmac_f16_e32 v20, -0.5, v23
	v_fmac_f16_e32 v31, -0.5, v30
	;; [unrolled: 1-line block ×4, first 2 shown]
	v_add_f16_e32 v5, v22, v5
	v_add_f16_e32 v22, v25, v45
	;; [unrolled: 1-line block ×3, first 2 shown]
	v_fmamk_f16 v25, v24, 0x3aee, v20
	v_fmac_f16_e32 v20, 0xbaee, v24
	v_fmamk_f16 v24, v7, 0xbaee, v31
	v_fmac_f16_e32 v31, 0x3aee, v7
	v_fmamk_f16 v7, v34, 0x3aee, v6
	v_fmamk_f16 v30, v4, 0xbaee, v39
	v_fmac_f16_e32 v6, 0xbaee, v34
	v_fmac_f16_e32 v39, 0x3aee, v4
	v_add_f16_e32 v4, v5, v21
	v_sub_f16_e32 v5, v5, v21
	v_mul_f16_e32 v21, 0x3aee, v30
	v_mul_f16_e32 v34, 0xbaee, v7
	v_add_f16_e32 v23, v35, v47
	v_mul_f16_e32 v33, -0.5, v6
	v_mul_f16_e32 v35, -0.5, v39
	v_fmac_f16_e32 v21, 0.5, v7
	v_fmac_f16_e32 v34, 0.5, v30
	v_add_f16_e32 v32, v22, v23
	v_fmac_f16_e32 v33, 0x3aee, v39
	v_fmac_f16_e32 v35, 0xbaee, v6
	v_sub_f16_e32 v22, v22, v23
	v_add_f16_e32 v6, v25, v21
	v_add_f16_e32 v23, v24, v34
	;; [unrolled: 1-line block ×4, first 2 shown]
	v_sub_f16_e32 v21, v25, v21
	v_sub_f16_e32 v20, v20, v33
	;; [unrolled: 1-line block ×4, first 2 shown]
	v_pack_b32_f16 v4, v4, v32
	v_pack_b32_f16 v6, v6, v23
	;; [unrolled: 1-line block ×6, first 2 shown]
	ds_write2_b32 v28, v4, v6 offset1:143
	ds_write2_b32 v19, v7, v5 offset0:30 offset1:173
	ds_write2_b32 v37, v21, v20 offset0:60 offset1:203
	s_and_saveexec_b32 s1, s0
	s_cbranch_execz .LBB0_16
; %bb.15:
	v_add_nc_u32_e32 v4, 0x4e, v8
	v_add_nc_u32_e32 v5, 0xffffffbf, v8
	v_cndmask_b32_e64 v4, v5, v4, s0
	v_mov_b32_e32 v5, 0
	v_mul_i32_i24_e32 v4, 5, v4
	v_lshlrev_b64 v[4:5], 2, v[4:5]
	v_add_co_u32 v20, s0, s8, v4
	v_add_co_ci_u32_e64 v21, s0, s9, v5, s0
	s_clause 0x1
	global_load_dwordx4 v[4:7], v[20:21], off offset:520
	global_load_dword v20, v[20:21], off offset:536
	v_add_nc_u32_e32 v21, 0xa00, v28
	s_waitcnt vmcnt(1)
	v_mul_f16_sdwa v22, v18, v5 dst_sel:DWORD dst_unused:UNUSED_PAD src0_sel:DWORD src1_sel:WORD_1
	v_mul_f16_sdwa v24, v2, v5 dst_sel:DWORD dst_unused:UNUSED_PAD src0_sel:DWORD src1_sel:WORD_1
	;; [unrolled: 1-line block ×3, first 2 shown]
	s_waitcnt vmcnt(0)
	v_mul_f16_sdwa v32, v29, v20 dst_sel:DWORD dst_unused:UNUSED_PAD src0_sel:DWORD src1_sel:WORD_1
	v_mul_f16_sdwa v33, v3, v6 dst_sel:DWORD dst_unused:UNUSED_PAD src0_sel:DWORD src1_sel:WORD_1
	;; [unrolled: 1-line block ×7, first 2 shown]
	v_fma_f16 v2, v2, v5, -v22
	v_fmac_f16_e32 v24, v18, v5
	v_fma_f16 v3, v3, v6, -v31
	v_fma_f16 v5, v13, v20, -v32
	v_fmac_f16_e32 v33, v15, v6
	v_fmac_f16_e32 v34, v29, v20
	v_fma_f16 v12, v12, v7, -v23
	v_fmac_f16_e32 v25, v16, v7
	v_fma_f16 v1, v1, v4, -v30
	v_fmac_f16_e32 v35, v17, v4
	v_add_f16_e32 v7, v3, v5
	v_add_f16_e32 v16, v33, v34
	v_sub_f16_e32 v4, v2, v12
	v_add_f16_e32 v6, v24, v25
	v_sub_f16_e32 v13, v33, v34
	v_sub_f16_e32 v15, v3, v5
	v_add_f16_e32 v17, v14, v24
	v_add_f16_e32 v20, v2, v12
	;; [unrolled: 1-line block ×4, first 2 shown]
	v_fma_f16 v1, -0.5, v7, v1
	v_fma_f16 v7, -0.5, v16, v35
	v_add_f16_e32 v18, v35, v33
	v_fma_f16 v6, -0.5, v6, v14
	v_add_f16_e32 v14, v17, v25
	v_add_f16_e32 v2, v2, v12
	v_fmamk_f16 v12, v13, 0xbaee, v1
	v_fmamk_f16 v17, v15, 0x3aee, v7
	v_fmac_f16_e32 v7, 0xbaee, v15
	v_fmac_f16_e32 v1, 0x3aee, v13
	v_add_f16_e32 v16, v18, v34
	v_add_f16_e32 v3, v3, v5
	v_sub_f16_e32 v22, v24, v25
	v_fma_f16 v0, -0.5, v20, v0
	v_mul_f16_e32 v18, 0xbaee, v1
	v_mul_f16_e32 v20, 0x3aee, v7
	v_fmamk_f16 v5, v4, 0x3aee, v6
	v_fmac_f16_e32 v6, 0xbaee, v4
	v_sub_f16_e32 v4, v14, v16
	v_sub_f16_e32 v15, v2, v3
	v_add_f16_e32 v14, v14, v16
	v_mul_f16_e32 v16, -0.5, v17
	v_add_f16_e32 v2, v2, v3
	v_mul_f16_e32 v3, -0.5, v12
	v_fmamk_f16 v13, v22, 0xbaee, v0
	v_fmac_f16_e32 v0, 0x3aee, v22
	v_fmac_f16_e32 v18, 0.5, v7
	v_fmac_f16_e32 v20, 0.5, v1
	v_fmac_f16_e32 v16, 0xbaee, v12
	v_fmac_f16_e32 v3, 0x3aee, v17
	v_pack_b32_f16 v2, v2, v14
	v_sub_f16_e32 v7, v6, v18
	v_add_f16_e32 v6, v6, v18
	v_add_f16_e32 v12, v0, v20
	v_sub_f16_e32 v1, v5, v16
	v_add_f16_e32 v5, v5, v16
	v_add_f16_e32 v14, v13, v3
	v_sub_f16_e32 v0, v0, v20
	v_sub_f16_e32 v3, v13, v3
	v_pack_b32_f16 v6, v12, v6
	v_pack_b32_f16 v4, v15, v4
	;; [unrolled: 1-line block ×5, first 2 shown]
	ds_write2_b32 v28, v2, v6 offset0:78 offset1:221
	ds_write2_b32 v19, v5, v4 offset0:108 offset1:251
	ds_write2_b32 v21, v0, v1 offset0:10 offset1:153
.LBB0_16:
	s_or_b32 exec_lo, exec_lo, s1
	s_waitcnt lgkmcnt(0)
	s_barrier
	buffer_gl0_inv
	ds_read_b32 v2, v26
	v_sub_nc_u32_e32 v4, v9, v27
	s_add_u32 s1, s8, 0xd34
	s_addc_u32 s4, s9, 0
	s_mov_b32 s5, exec_lo
                                        ; implicit-def: $vgpr7
                                        ; implicit-def: $vgpr5
                                        ; implicit-def: $vgpr6
                                        ; implicit-def: $vgpr0_vgpr1
	v_cmpx_ne_u32_e32 0, v8
	s_xor_b32 s5, exec_lo, s5
	s_cbranch_execz .LBB0_18
; %bb.17:
	v_mov_b32_e32 v9, 0
	v_lshlrev_b64 v[0:1], 2, v[8:9]
	v_add_co_u32 v0, s0, s1, v0
	v_add_co_ci_u32_e64 v1, s0, s4, v1, s0
	global_load_dword v0, v[0:1], off
	ds_read_b32 v1, v4 offset:3432
	s_waitcnt lgkmcnt(0)
	v_sub_f16_e32 v3, v2, v1
	v_add_f16_sdwa v5, v1, v2 dst_sel:DWORD dst_unused:UNUSED_PAD src0_sel:WORD_1 src1_sel:WORD_1
	v_sub_f16_sdwa v6, v2, v1 dst_sel:DWORD dst_unused:UNUSED_PAD src0_sel:WORD_1 src1_sel:WORD_1
	v_add_f16_e32 v1, v1, v2
	v_mul_f16_e32 v3, 0.5, v3
	v_mul_f16_e32 v2, 0.5, v5
	;; [unrolled: 1-line block ×3, first 2 shown]
	s_waitcnt vmcnt(0)
	v_lshrrev_b32_e32 v7, 16, v0
	v_mul_f16_e32 v6, v7, v3
	v_fma_f16 v12, v2, v7, v5
	v_fma_f16 v7, v2, v7, -v5
	v_fma_f16 v13, 0.5, v1, v6
	v_fma_f16 v1, v1, 0.5, -v6
	v_fma_f16 v6, -v0, v3, v12
	v_fma_f16 v7, -v0, v3, v7
	v_fmac_f16_e32 v13, v0, v2
	v_fma_f16 v5, -v0, v2, v1
	v_mov_b32_e32 v0, v8
	v_mov_b32_e32 v1, v9
                                        ; implicit-def: $vgpr2
                                        ; implicit-def: $vgpr9
	ds_write_b16 v26, v13
.LBB0_18:
	s_andn2_saveexec_b32 s0, s5
	s_cbranch_execz .LBB0_20
; %bb.19:
	ds_read_u16 v3, v9 offset:1718
	v_mov_b32_e32 v0, 0
	s_waitcnt lgkmcnt(1)
	v_add_f16_sdwa v12, v2, v2 dst_sel:DWORD dst_unused:UNUSED_PAD src0_sel:WORD_1 src1_sel:DWORD
	v_sub_f16_sdwa v5, v2, v2 dst_sel:DWORD dst_unused:UNUSED_PAD src0_sel:DWORD src1_sel:WORD_1
	v_mov_b32_e32 v1, 0
	v_mov_b32_e32 v6, 0
	;; [unrolled: 1-line block ×3, first 2 shown]
	s_waitcnt lgkmcnt(0)
	v_xor_b32_e32 v2, 0x8000, v3
	ds_write_b16 v26, v12
	ds_write_b16 v9, v2 offset:1718
.LBB0_20:
	s_or_b32 exec_lo, exec_lo, s0
	v_lshlrev_b64 v[0:1], 2, v[0:1]
	v_perm_b32 v5, v7, v5, 0x5040100
	s_waitcnt lgkmcnt(0)
	v_add_co_u32 v2, s0, s1, v0
	v_add_co_ci_u32_e64 v3, s0, s4, v1, s0
	s_mov_b32 s1, exec_lo
	s_clause 0x3
	global_load_dword v9, v[2:3], off offset:312
	global_load_dword v12, v[2:3], off offset:624
	;; [unrolled: 1-line block ×4, first 2 shown]
	ds_write_b16 v26, v6 offset:2
	ds_write_b32 v4, v5 offset:3432
	ds_read_b32 v5, v26 offset:312
	ds_read_b32 v6, v4 offset:3120
	s_waitcnt lgkmcnt(0)
	v_pk_add_f16 v7, v5, v6 neg_lo:[0,1] neg_hi:[0,1]
	v_pk_add_f16 v5, v5, v6
	v_bfi_b32 v6, 0xffff, v7, v5
	v_bfi_b32 v5, 0xffff, v5, v7
	v_pk_mul_f16 v6, v6, 0.5 op_sel_hi:[1,0]
	v_pk_mul_f16 v5, v5, 0.5 op_sel_hi:[1,0]
	s_waitcnt vmcnt(3)
	v_pk_fma_f16 v7, v9, v6, v5 op_sel:[1,0,0]
	v_pk_mul_f16 v15, v9, v6 op_sel_hi:[0,1]
	v_pk_fma_f16 v16, v9, v6, v5 op_sel:[1,0,0] neg_lo:[1,0,0] neg_hi:[1,0,0]
	v_pk_fma_f16 v5, v9, v6, v5 op_sel:[1,0,0] neg_lo:[0,0,1] neg_hi:[0,0,1]
	v_pk_add_f16 v6, v7, v15 op_sel:[0,1] op_sel_hi:[1,0]
	v_pk_add_f16 v7, v7, v15 op_sel:[0,1] op_sel_hi:[1,0] neg_lo:[0,1] neg_hi:[0,1]
	v_pk_add_f16 v9, v16, v15 op_sel:[0,1] op_sel_hi:[1,0] neg_lo:[0,1] neg_hi:[0,1]
	v_pk_add_f16 v5, v5, v15 op_sel:[0,1] op_sel_hi:[1,0] neg_lo:[0,1] neg_hi:[0,1]
	v_bfi_b32 v6, 0xffff, v6, v7
	v_bfi_b32 v5, 0xffff, v9, v5
	ds_write_b32 v26, v6 offset:312
	ds_write_b32 v4, v5 offset:3120
	ds_read_b32 v5, v26 offset:624
	ds_read_b32 v6, v4 offset:2808
	s_waitcnt lgkmcnt(0)
	v_pk_add_f16 v7, v5, v6 neg_lo:[0,1] neg_hi:[0,1]
	v_pk_add_f16 v5, v5, v6
	v_bfi_b32 v6, 0xffff, v7, v5
	v_bfi_b32 v5, 0xffff, v5, v7
	v_pk_mul_f16 v6, v6, 0.5 op_sel_hi:[1,0]
	v_pk_mul_f16 v5, v5, 0.5 op_sel_hi:[1,0]
	s_waitcnt vmcnt(2)
	v_pk_mul_f16 v9, v12, v6 op_sel_hi:[0,1]
	v_pk_fma_f16 v7, v12, v6, v5 op_sel:[1,0,0]
	v_pk_fma_f16 v15, v12, v6, v5 op_sel:[1,0,0] neg_lo:[1,0,0] neg_hi:[1,0,0]
	v_pk_fma_f16 v5, v12, v6, v5 op_sel:[1,0,0] neg_lo:[0,0,1] neg_hi:[0,0,1]
	v_pk_add_f16 v6, v7, v9 op_sel:[0,1] op_sel_hi:[1,0]
	v_pk_add_f16 v7, v7, v9 op_sel:[0,1] op_sel_hi:[1,0] neg_lo:[0,1] neg_hi:[0,1]
	v_pk_add_f16 v12, v15, v9 op_sel:[0,1] op_sel_hi:[1,0] neg_lo:[0,1] neg_hi:[0,1]
	v_pk_add_f16 v5, v5, v9 op_sel:[0,1] op_sel_hi:[1,0] neg_lo:[0,1] neg_hi:[0,1]
	v_bfi_b32 v6, 0xffff, v6, v7
	v_bfi_b32 v5, 0xffff, v12, v5
	ds_write_b32 v26, v6 offset:624
	ds_write_b32 v4, v5 offset:2808
	ds_read_b32 v5, v26 offset:936
	ds_read_b32 v6, v4 offset:2496
	s_waitcnt lgkmcnt(0)
	v_pk_add_f16 v7, v5, v6 neg_lo:[0,1] neg_hi:[0,1]
	v_pk_add_f16 v5, v5, v6
	v_bfi_b32 v6, 0xffff, v7, v5
	v_bfi_b32 v5, 0xffff, v5, v7
	v_pk_mul_f16 v6, v6, 0.5 op_sel_hi:[1,0]
	v_pk_mul_f16 v5, v5, 0.5 op_sel_hi:[1,0]
	s_waitcnt vmcnt(1)
	v_pk_mul_f16 v9, v13, v6 op_sel_hi:[0,1]
	v_pk_fma_f16 v7, v13, v6, v5 op_sel:[1,0,0]
	;; [unrolled: 22-line block ×3, first 2 shown]
	v_pk_fma_f16 v12, v14, v6, v5 op_sel:[1,0,0] neg_lo:[1,0,0] neg_hi:[1,0,0]
	v_pk_fma_f16 v5, v14, v6, v5 op_sel:[1,0,0] neg_lo:[0,0,1] neg_hi:[0,0,1]
	v_pk_add_f16 v6, v7, v9 op_sel:[0,1] op_sel_hi:[1,0]
	v_pk_add_f16 v7, v7, v9 op_sel:[0,1] op_sel_hi:[1,0] neg_lo:[0,1] neg_hi:[0,1]
	v_pk_add_f16 v12, v12, v9 op_sel:[0,1] op_sel_hi:[1,0] neg_lo:[0,1] neg_hi:[0,1]
	;; [unrolled: 1-line block ×3, first 2 shown]
	v_bfi_b32 v6, 0xffff, v6, v7
	v_bfi_b32 v5, 0xffff, v12, v5
	ds_write_b32 v26, v6 offset:1248
	ds_write_b32 v4, v5 offset:2184
	v_cmpx_gt_u32_e32 39, v8
	s_cbranch_execz .LBB0_22
; %bb.21:
	global_load_dword v2, v[2:3], off offset:1560
	ds_read_b32 v3, v26 offset:1560
	ds_read_b32 v5, v4 offset:1872
	s_waitcnt lgkmcnt(0)
	v_pk_add_f16 v6, v3, v5 neg_lo:[0,1] neg_hi:[0,1]
	v_pk_add_f16 v3, v3, v5
	v_bfi_b32 v5, 0xffff, v6, v3
	v_bfi_b32 v3, 0xffff, v3, v6
	v_pk_mul_f16 v5, v5, 0.5 op_sel_hi:[1,0]
	v_pk_mul_f16 v3, v3, 0.5 op_sel_hi:[1,0]
	s_waitcnt vmcnt(0)
	v_pk_fma_f16 v6, v2, v5, v3 op_sel:[1,0,0]
	v_pk_mul_f16 v7, v2, v5 op_sel_hi:[0,1]
	v_pk_fma_f16 v9, v2, v5, v3 op_sel:[1,0,0] neg_lo:[1,0,0] neg_hi:[1,0,0]
	v_pk_fma_f16 v2, v2, v5, v3 op_sel:[1,0,0] neg_lo:[0,0,1] neg_hi:[0,0,1]
	v_pk_add_f16 v3, v6, v7 op_sel:[0,1] op_sel_hi:[1,0]
	v_pk_add_f16 v5, v6, v7 op_sel:[0,1] op_sel_hi:[1,0] neg_lo:[0,1] neg_hi:[0,1]
	v_pk_add_f16 v6, v9, v7 op_sel:[0,1] op_sel_hi:[1,0] neg_lo:[0,1] neg_hi:[0,1]
	;; [unrolled: 1-line block ×3, first 2 shown]
	v_bfi_b32 v3, 0xffff, v3, v5
	v_bfi_b32 v2, 0xffff, v6, v2
	ds_write_b32 v26, v3 offset:1560
	ds_write_b32 v4, v2 offset:1872
.LBB0_22:
	s_or_b32 exec_lo, exec_lo, s1
	s_waitcnt lgkmcnt(0)
	s_barrier
	buffer_gl0_inv
	s_and_saveexec_b32 s0, vcc_lo
	s_cbranch_execz .LBB0_25
; %bb.23:
	v_add_nc_u32_e32 v2, 0x400, v26
	v_add_nc_u32_e32 v9, 0x800, v26
	;; [unrolled: 1-line block ×3, first 2 shown]
	ds_read2_b32 v[4:5], v26 offset1:78
	ds_read2_b32 v[6:7], v26 offset0:156 offset1:234
	ds_read2_b32 v[12:13], v2 offset0:56 offset1:134
	ds_read2_b32 v[14:15], v3 offset0:84 offset1:162
	v_add_co_u32 v2, vcc_lo, s2, v10
	v_add_co_ci_u32_e32 v3, vcc_lo, s3, v11, vcc_lo
	ds_read2_b32 v[9:10], v9 offset0:112 offset1:190
	ds_read_b32 v11, v26 offset:3120
	v_add_co_u32 v0, vcc_lo, v2, v0
	v_add_co_ci_u32_e32 v1, vcc_lo, v3, v1, vcc_lo
	s_waitcnt lgkmcnt(5)
	global_store_dword v[0:1], v4, off
	global_store_dword v[0:1], v5, off offset:312
	s_waitcnt lgkmcnt(4)
	global_store_dword v[0:1], v6, off offset:624
	global_store_dword v[0:1], v7, off offset:936
	s_waitcnt lgkmcnt(3)
	global_store_dword v[0:1], v12, off offset:1248
	;; [unrolled: 3-line block ×3, first 2 shown]
	v_add_co_u32 v16, vcc_lo, 0x800, v0
	v_add_co_ci_u32_e32 v17, vcc_lo, 0, v1, vcc_lo
	v_cmp_eq_u32_e32 vcc_lo, 0x4d, v8
	global_store_dword v[16:17], v15, off offset:136
	s_waitcnt lgkmcnt(1)
	global_store_dword v[16:17], v9, off offset:448
	global_store_dword v[16:17], v10, off offset:760
	s_waitcnt lgkmcnt(0)
	global_store_dword v[16:17], v11, off offset:1072
	s_and_b32 exec_lo, exec_lo, vcc_lo
	s_cbranch_execz .LBB0_25
; %bb.24:
	ds_read_b32 v4, v26 offset:3124
	v_add_co_u32 v0, vcc_lo, 0x800, v2
	v_add_co_ci_u32_e32 v1, vcc_lo, 0, v3, vcc_lo
	s_waitcnt lgkmcnt(0)
	global_store_dword v[0:1], v4, off offset:1384
.LBB0_25:
	s_endpgm
	.section	.rodata,"a",@progbits
	.p2align	6, 0x0
	.amdhsa_kernel fft_rtc_fwd_len858_factors_13_11_6_wgs_234_tpt_78_halfLds_half_ip_CI_unitstride_sbrr_R2C_dirReg
		.amdhsa_group_segment_fixed_size 0
		.amdhsa_private_segment_fixed_size 0
		.amdhsa_kernarg_size 88
		.amdhsa_user_sgpr_count 6
		.amdhsa_user_sgpr_private_segment_buffer 1
		.amdhsa_user_sgpr_dispatch_ptr 0
		.amdhsa_user_sgpr_queue_ptr 0
		.amdhsa_user_sgpr_kernarg_segment_ptr 1
		.amdhsa_user_sgpr_dispatch_id 0
		.amdhsa_user_sgpr_flat_scratch_init 0
		.amdhsa_user_sgpr_private_segment_size 0
		.amdhsa_wavefront_size32 1
		.amdhsa_uses_dynamic_stack 0
		.amdhsa_system_sgpr_private_segment_wavefront_offset 0
		.amdhsa_system_sgpr_workgroup_id_x 1
		.amdhsa_system_sgpr_workgroup_id_y 0
		.amdhsa_system_sgpr_workgroup_id_z 0
		.amdhsa_system_sgpr_workgroup_info 0
		.amdhsa_system_vgpr_workitem_id 0
		.amdhsa_next_free_vgpr 130
		.amdhsa_next_free_sgpr 21
		.amdhsa_reserve_vcc 1
		.amdhsa_reserve_flat_scratch 0
		.amdhsa_float_round_mode_32 0
		.amdhsa_float_round_mode_16_64 0
		.amdhsa_float_denorm_mode_32 3
		.amdhsa_float_denorm_mode_16_64 3
		.amdhsa_dx10_clamp 1
		.amdhsa_ieee_mode 1
		.amdhsa_fp16_overflow 0
		.amdhsa_workgroup_processor_mode 1
		.amdhsa_memory_ordered 1
		.amdhsa_forward_progress 0
		.amdhsa_shared_vgpr_count 0
		.amdhsa_exception_fp_ieee_invalid_op 0
		.amdhsa_exception_fp_denorm_src 0
		.amdhsa_exception_fp_ieee_div_zero 0
		.amdhsa_exception_fp_ieee_overflow 0
		.amdhsa_exception_fp_ieee_underflow 0
		.amdhsa_exception_fp_ieee_inexact 0
		.amdhsa_exception_int_div_zero 0
	.end_amdhsa_kernel
	.text
.Lfunc_end0:
	.size	fft_rtc_fwd_len858_factors_13_11_6_wgs_234_tpt_78_halfLds_half_ip_CI_unitstride_sbrr_R2C_dirReg, .Lfunc_end0-fft_rtc_fwd_len858_factors_13_11_6_wgs_234_tpt_78_halfLds_half_ip_CI_unitstride_sbrr_R2C_dirReg
                                        ; -- End function
	.section	.AMDGPU.csdata,"",@progbits
; Kernel info:
; codeLenInByte = 10256
; NumSgprs: 23
; NumVgprs: 130
; ScratchSize: 0
; MemoryBound: 0
; FloatMode: 240
; IeeeMode: 1
; LDSByteSize: 0 bytes/workgroup (compile time only)
; SGPRBlocks: 2
; VGPRBlocks: 16
; NumSGPRsForWavesPerEU: 23
; NumVGPRsForWavesPerEU: 130
; Occupancy: 7
; WaveLimiterHint : 1
; COMPUTE_PGM_RSRC2:SCRATCH_EN: 0
; COMPUTE_PGM_RSRC2:USER_SGPR: 6
; COMPUTE_PGM_RSRC2:TRAP_HANDLER: 0
; COMPUTE_PGM_RSRC2:TGID_X_EN: 1
; COMPUTE_PGM_RSRC2:TGID_Y_EN: 0
; COMPUTE_PGM_RSRC2:TGID_Z_EN: 0
; COMPUTE_PGM_RSRC2:TIDIG_COMP_CNT: 0
	.text
	.p2alignl 6, 3214868480
	.fill 48, 4, 3214868480
	.type	__hip_cuid_32bcb5185e96c25b,@object ; @__hip_cuid_32bcb5185e96c25b
	.section	.bss,"aw",@nobits
	.globl	__hip_cuid_32bcb5185e96c25b
__hip_cuid_32bcb5185e96c25b:
	.byte	0                               ; 0x0
	.size	__hip_cuid_32bcb5185e96c25b, 1

	.ident	"AMD clang version 19.0.0git (https://github.com/RadeonOpenCompute/llvm-project roc-6.4.0 25133 c7fe45cf4b819c5991fe208aaa96edf142730f1d)"
	.section	".note.GNU-stack","",@progbits
	.addrsig
	.addrsig_sym __hip_cuid_32bcb5185e96c25b
	.amdgpu_metadata
---
amdhsa.kernels:
  - .args:
      - .actual_access:  read_only
        .address_space:  global
        .offset:         0
        .size:           8
        .value_kind:     global_buffer
      - .offset:         8
        .size:           8
        .value_kind:     by_value
      - .actual_access:  read_only
        .address_space:  global
        .offset:         16
        .size:           8
        .value_kind:     global_buffer
      - .actual_access:  read_only
        .address_space:  global
        .offset:         24
        .size:           8
        .value_kind:     global_buffer
      - .offset:         32
        .size:           8
        .value_kind:     by_value
      - .actual_access:  read_only
        .address_space:  global
        .offset:         40
        .size:           8
        .value_kind:     global_buffer
      - .actual_access:  read_only
        .address_space:  global
        .offset:         48
        .size:           8
        .value_kind:     global_buffer
      - .offset:         56
        .size:           4
        .value_kind:     by_value
      - .actual_access:  read_only
        .address_space:  global
        .offset:         64
        .size:           8
        .value_kind:     global_buffer
      - .actual_access:  read_only
        .address_space:  global
        .offset:         72
        .size:           8
        .value_kind:     global_buffer
      - .address_space:  global
        .offset:         80
        .size:           8
        .value_kind:     global_buffer
    .group_segment_fixed_size: 0
    .kernarg_segment_align: 8
    .kernarg_segment_size: 88
    .language:       OpenCL C
    .language_version:
      - 2
      - 0
    .max_flat_workgroup_size: 234
    .name:           fft_rtc_fwd_len858_factors_13_11_6_wgs_234_tpt_78_halfLds_half_ip_CI_unitstride_sbrr_R2C_dirReg
    .private_segment_fixed_size: 0
    .sgpr_count:     23
    .sgpr_spill_count: 0
    .symbol:         fft_rtc_fwd_len858_factors_13_11_6_wgs_234_tpt_78_halfLds_half_ip_CI_unitstride_sbrr_R2C_dirReg.kd
    .uniform_work_group_size: 1
    .uses_dynamic_stack: false
    .vgpr_count:     130
    .vgpr_spill_count: 0
    .wavefront_size: 32
    .workgroup_processor_mode: 1
amdhsa.target:   amdgcn-amd-amdhsa--gfx1030
amdhsa.version:
  - 1
  - 2
...

	.end_amdgpu_metadata
